;; amdgpu-corpus repo=zjin-lcf/HeCBench kind=compiled arch=gfx906 opt=O3
	.amdgcn_target "amdgcn-amd-amdhsa--gfx906"
	.amdhsa_code_object_version 6
	.text
	.protected	_Z2k0PKfPf              ; -- Begin function _Z2k0PKfPf
	.globl	_Z2k0PKfPf
	.p2align	8
	.type	_Z2k0PKfPf,@function
_Z2k0PKfPf:                             ; @_Z2k0PKfPf
; %bb.0:
	s_load_dword s7, s[4:5], 0x1c
	s_load_dwordx4 s[0:3], s[4:5], 0x0
	v_mov_b32_e32 v4, 0x3c091de6
	v_mov_b32_e32 v5, 0x3d2aadcc
	;; [unrolled: 1-line block ×3, first 2 shown]
	s_waitcnt lgkmcnt(0)
	s_and_b32 s4, s7, 0xffff
	s_mul_i32 s6, s6, s4
	v_add_u32_e32 v0, s6, v0
	v_ashrrev_i32_e32 v1, 31, v0
	v_lshlrev_b64 v[0:1], 2, v[0:1]
	v_mov_b32_e32 v3, s1
	v_add_co_u32_e32 v2, vcc, s0, v0
	v_addc_co_u32_e32 v3, vcc, v3, v1, vcc
	global_load_dword v2, v[2:3], off
	s_mov_b32 s0, 0xbf317218
	v_mov_b32_e32 v3, 0x3efffffc
	s_mov_b32 s4, 0x42b2d4fc
	v_mov_b32_e32 v7, 0x7f800000
	s_mov_b32 s5, 0x39800000
	s_brev_b32 s6, -2
	s_waitcnt vmcnt(0)
	v_add_f32_e64 v10, |v2|, s0
	v_sub_f32_e64 v11, v10, |v2|
	v_sub_f32_e32 v12, v11, v10
	v_add_f32_e32 v11, 0x3f317218, v11
	v_add_f32_e64 v12, |v2|, v12
	v_sub_f32_e32 v11, v12, v11
	v_add_f32_e32 v11, 0x3102e308, v11
	v_add_f32_e32 v12, v10, v11
	v_sub_f32_e32 v10, v10, v12
	v_mul_f32_e32 v13, 0x3fb8aa3b, v12
	v_add_f32_e32 v10, v11, v10
	v_rndne_f32_e32 v11, v13
	v_fmac_f32_e32 v12, 0xbf317200, v11
	v_mul_f32_e32 v13, 0x35bfbc00, v11
	v_add_f32_e32 v15, v10, v12
	v_sub_f32_e32 v12, v12, v15
	v_sub_f32_e32 v16, v15, v13
	v_add_f32_e32 v10, v10, v12
	v_sub_f32_e32 v12, v15, v16
	v_sub_f32_e32 v12, v12, v13
	v_add_f32_e32 v10, v10, v12
	v_mul_f32_e32 v14, 0x2ea39ef3, v11
	v_add_f32_e32 v12, v16, v10
	v_sub_f32_e32 v15, v12, v14
	v_sub_f32_e32 v13, v16, v12
	;; [unrolled: 1-line block ×3, first 2 shown]
	v_add_f32_e32 v10, v10, v13
	v_sub_f32_e32 v12, v12, v14
	v_add_f32_e32 v10, v10, v12
	v_add_f32_e32 v12, v15, v10
	v_fmac_f32_e32 v4, 0x3ab42872, v12
	v_sub_f32_e32 v13, v15, v12
	v_mul_f32_e32 v14, v12, v12
	v_fmac_f32_e32 v5, v12, v4
	v_add_f32_e32 v4, v10, v13
	v_fma_f32 v10, v12, v12, -v14
	v_fmac_f32_e32 v6, v12, v5
	v_add_f32_e32 v5, v4, v4
	v_fmac_f32_e32 v10, v12, v5
	v_fmac_f32_e32 v3, v12, v6
	v_add_f32_e32 v5, v14, v10
	v_sub_f32_e32 v6, v5, v14
	v_mul_f32_e32 v13, v3, v5
	v_sub_f32_e32 v6, v10, v6
	v_fma_f32 v5, v5, v3, -v13
	v_fmac_f32_e32 v5, v6, v3
	v_add_f32_e32 v3, v13, v5
	v_sub_f32_e32 v6, v3, v13
	v_add_f32_e32 v10, v12, v3
	v_sub_f32_e32 v5, v5, v6
	v_sub_f32_e32 v6, v10, v12
	v_sub_f32_e32 v3, v3, v6
	v_add_f32_e32 v4, v4, v5
	v_add_f32_e32 v3, v4, v3
	;; [unrolled: 1-line block ×3, first 2 shown]
	v_sub_f32_e32 v5, v4, v10
	v_add_f32_e32 v6, 1.0, v4
	v_cvt_i32_f32_e32 v11, v11
	v_sub_f32_e32 v3, v3, v5
	v_add_f32_e32 v5, -1.0, v6
	v_sub_f32_e32 v4, v4, v5
	v_add_f32_e32 v3, v3, v4
	v_add_f32_e32 v4, v6, v3
	v_ldexp_f32 v5, v4, v11
	v_rcp_f32_e32 v10, v5
	v_sub_f32_e32 v4, v4, v6
	v_sub_f32_e32 v3, v3, v4
	v_ldexp_f32 v3, v3, v11
	v_mul_f32_e32 v4, v5, v10
	v_fma_f32 v6, v10, v5, -v4
	v_fmac_f32_e32 v6, v10, v3
	v_add_f32_e32 v11, v4, v6
	v_sub_f32_e32 v12, 1.0, v11
	v_sub_f32_e32 v4, v11, v4
	v_sub_f32_e32 v13, 1.0, v12
	v_sub_f32_e32 v4, v4, v6
	v_sub_f32_e32 v6, v13, v11
	v_add_f32_e32 v4, v4, v6
	v_add_f32_e32 v6, v12, v4
	v_mul_f32_e32 v11, v10, v6
	v_sub_f32_e32 v12, v12, v6
	v_mul_f32_e32 v13, v5, v11
	v_add_f32_e32 v4, v4, v12
	v_add_f32_e32 v12, v10, v11
	v_fma_f32 v14, v11, v5, -v13
	v_sub_f32_e32 v15, v12, v10
	v_fmac_f32_e32 v14, v11, v3
	v_sub_f32_e32 v11, v11, v15
	v_add_f32_e32 v15, v13, v14
	v_sub_f32_e32 v16, v6, v15
	v_sub_f32_e32 v6, v6, v16
	;; [unrolled: 1-line block ×5, first 2 shown]
	v_add_f32_e32 v4, v4, v6
	v_add_f32_e32 v4, v13, v4
	v_add_f32_e32 v4, v16, v4
	v_mul_f32_e32 v4, v10, v4
	v_add_f32_e32 v4, v11, v4
	v_add_f32_e32 v6, v12, v4
	v_sub_f32_e32 v10, v6, v12
	v_ldexp_f32 v6, v6, -2
	v_sub_f32_e32 v4, v4, v10
	v_add_f32_e32 v10, v5, v6
	v_sub_f32_e32 v11, v5, v6
	v_sub_f32_e32 v12, v10, v5
	;; [unrolled: 1-line block ×3, first 2 shown]
	v_ldexp_f32 v4, v4, -2
	v_sub_f32_e32 v5, v5, v6
	v_add_f32_e32 v13, v3, v4
	v_add_f32_e32 v3, v3, v5
	v_div_scale_f32 v8, s[0:1], v2, v2, -1.0
	v_sub_f32_e32 v3, v3, v4
	v_sub_f32_e32 v12, v6, v12
	v_cmp_gt_f32_e64 vcc, |v2|, s4
	v_add_f32_e32 v3, v11, v3
	v_add_f32_e32 v6, v13, v12
	v_cndmask_b32_e32 v3, v3, v7, vcc
	v_cmp_lt_f32_e64 s[4:5], |v2|, s5
	v_add_f32_e32 v5, v10, v6
	v_cndmask_b32_e64 v3, v3, |v2|, s[4:5]
	v_cndmask_b32_e32 v4, v5, v7, vcc
	v_bfi_b32 v3, s6, v3, v2
	v_div_scale_f32 v5, s[4:5], v3, v3, v4
	v_div_scale_f32 v9, s[0:1], -1.0, v2, -1.0
	v_div_scale_f32 v6, vcc, v4, v3, v4
	v_rcp_f32_e32 v7, v8
	v_fma_f32 v10, -v8, v7, 1.0
	v_fmac_f32_e32 v7, v10, v7
	v_rcp_f32_e32 v11, v5
	v_mul_f32_e32 v10, v9, v7
	v_fma_f32 v12, -v8, v10, v9
	v_fmac_f32_e32 v10, v12, v7
	v_fma_f32 v8, -v8, v10, v9
	v_fma_f32 v9, -v5, v11, 1.0
	v_fmac_f32_e32 v11, v9, v11
	v_mul_f32_e32 v9, v6, v11
	v_fma_f32 v12, -v5, v9, v6
	v_fmac_f32_e32 v9, v12, v11
	v_fma_f32 v5, -v5, v9, v6
	v_div_fmas_f32 v5, v5, v11, v9
	s_mov_b64 vcc, s[0:1]
	v_div_fmas_f32 v6, v8, v7, v10
	v_mov_b32_e32 v7, s3
	v_add_co_u32_e32 v0, vcc, s2, v0
	v_addc_co_u32_e32 v1, vcc, v7, v1, vcc
	v_div_fixup_f32 v3, v5, v3, v4
	v_div_fixup_f32 v2, v6, v2, -1.0
	v_add_f32_e32 v2, v3, v2
	global_store_dword v[0:1], v2, off
	s_endpgm
	.section	.rodata,"a",@progbits
	.p2align	6, 0x0
	.amdhsa_kernel _Z2k0PKfPf
		.amdhsa_group_segment_fixed_size 0
		.amdhsa_private_segment_fixed_size 0
		.amdhsa_kernarg_size 272
		.amdhsa_user_sgpr_count 6
		.amdhsa_user_sgpr_private_segment_buffer 1
		.amdhsa_user_sgpr_dispatch_ptr 0
		.amdhsa_user_sgpr_queue_ptr 0
		.amdhsa_user_sgpr_kernarg_segment_ptr 1
		.amdhsa_user_sgpr_dispatch_id 0
		.amdhsa_user_sgpr_flat_scratch_init 0
		.amdhsa_user_sgpr_private_segment_size 0
		.amdhsa_uses_dynamic_stack 0
		.amdhsa_system_sgpr_private_segment_wavefront_offset 0
		.amdhsa_system_sgpr_workgroup_id_x 1
		.amdhsa_system_sgpr_workgroup_id_y 0
		.amdhsa_system_sgpr_workgroup_id_z 0
		.amdhsa_system_sgpr_workgroup_info 0
		.amdhsa_system_vgpr_workitem_id 0
		.amdhsa_next_free_vgpr 17
		.amdhsa_next_free_sgpr 8
		.amdhsa_reserve_vcc 1
		.amdhsa_reserve_flat_scratch 0
		.amdhsa_float_round_mode_32 0
		.amdhsa_float_round_mode_16_64 0
		.amdhsa_float_denorm_mode_32 3
		.amdhsa_float_denorm_mode_16_64 3
		.amdhsa_dx10_clamp 1
		.amdhsa_ieee_mode 1
		.amdhsa_fp16_overflow 0
		.amdhsa_exception_fp_ieee_invalid_op 0
		.amdhsa_exception_fp_denorm_src 0
		.amdhsa_exception_fp_ieee_div_zero 0
		.amdhsa_exception_fp_ieee_overflow 0
		.amdhsa_exception_fp_ieee_underflow 0
		.amdhsa_exception_fp_ieee_inexact 0
		.amdhsa_exception_int_div_zero 0
	.end_amdhsa_kernel
	.text
.Lfunc_end0:
	.size	_Z2k0PKfPf, .Lfunc_end0-_Z2k0PKfPf
                                        ; -- End function
	.set _Z2k0PKfPf.num_vgpr, 17
	.set _Z2k0PKfPf.num_agpr, 0
	.set _Z2k0PKfPf.numbered_sgpr, 8
	.set _Z2k0PKfPf.num_named_barrier, 0
	.set _Z2k0PKfPf.private_seg_size, 0
	.set _Z2k0PKfPf.uses_vcc, 1
	.set _Z2k0PKfPf.uses_flat_scratch, 0
	.set _Z2k0PKfPf.has_dyn_sized_stack, 0
	.set _Z2k0PKfPf.has_recursion, 0
	.set _Z2k0PKfPf.has_indirect_call, 0
	.section	.AMDGPU.csdata,"",@progbits
; Kernel info:
; codeLenInByte = 892
; TotalNumSgprs: 12
; NumVgprs: 17
; ScratchSize: 0
; MemoryBound: 0
; FloatMode: 240
; IeeeMode: 1
; LDSByteSize: 0 bytes/workgroup (compile time only)
; SGPRBlocks: 1
; VGPRBlocks: 4
; NumSGPRsForWavesPerEU: 12
; NumVGPRsForWavesPerEU: 17
; Occupancy: 10
; WaveLimiterHint : 0
; COMPUTE_PGM_RSRC2:SCRATCH_EN: 0
; COMPUTE_PGM_RSRC2:USER_SGPR: 6
; COMPUTE_PGM_RSRC2:TRAP_HANDLER: 0
; COMPUTE_PGM_RSRC2:TGID_X_EN: 1
; COMPUTE_PGM_RSRC2:TGID_Y_EN: 0
; COMPUTE_PGM_RSRC2:TGID_Z_EN: 0
; COMPUTE_PGM_RSRC2:TIDIG_COMP_CNT: 0
	.text
	.protected	_Z2k1PKfPf              ; -- Begin function _Z2k1PKfPf
	.globl	_Z2k1PKfPf
	.p2align	8
	.type	_Z2k1PKfPf,@function
_Z2k1PKfPf:                             ; @_Z2k1PKfPf
; %bb.0:
	s_load_dword s7, s[4:5], 0x1c
	s_load_dwordx4 s[0:3], s[4:5], 0x0
	s_waitcnt lgkmcnt(0)
	s_and_b32 s4, s7, 0xffff
	s_mul_i32 s6, s6, s4
	v_add_u32_e32 v0, s6, v0
	v_ashrrev_i32_e32 v1, 31, v0
	v_lshlrev_b64 v[0:1], 2, v[0:1]
	v_mov_b32_e32 v3, s1
	v_add_co_u32_e32 v2, vcc, s0, v0
	v_addc_co_u32_e32 v3, vcc, v3, v1, vcc
	global_load_dword v2, v[2:3], off
	s_mov_b32 s0, 0x3f200000
                                        ; implicit-def: $vgpr3
	s_waitcnt vmcnt(0)
	v_cmp_nlt_f32_e64 s[0:1], |v2|, s0
	s_and_saveexec_b64 s[4:5], s[0:1]
	s_xor_b64 s[0:1], exec, s[4:5]
	s_cbranch_execz .LBB1_2
; %bb.1:
	v_add_f32_e64 v3, |v2|, |v2|
	v_mul_f32_e32 v4, 0x3fb8aa3b, v3
	s_mov_b32 s4, 0x3fb8aa3b
	v_rndne_f32_e32 v5, v4
	v_sub_f32_e32 v6, v4, v5
	v_fma_f32 v4, v3, s4, -v4
	v_fmac_f32_e32 v4, 0x32a5705f, v3
	v_add_f32_e32 v4, v6, v4
	v_exp_f32_e32 v4, v4
	v_cvt_i32_f32_e32 v5, v5
	s_mov_b32 s4, 0xc2ce8ed0
	v_cmp_ngt_f32_e32 vcc, s4, v3
	s_mov_b32 s4, 0x42b17218
	v_ldexp_f32 v4, v4, v5
	v_cndmask_b32_e32 v4, 0, v4, vcc
	v_mov_b32_e32 v5, 0x7f800000
	v_cmp_nlt_f32_e32 vcc, s4, v3
	v_cndmask_b32_e32 v3, v5, v4, vcc
	v_add_f32_e32 v3, 1.0, v3
	v_rcp_f32_e32 v3, v3
	v_fma_f32 v3, v3, -2.0, 1.0
.LBB1_2:
	s_andn2_saveexec_b64 s[0:1], s[0:1]
	s_cbranch_execz .LBB1_4
; %bb.3:
	v_mul_f32_e32 v3, v2, v2
	v_mov_b32_e32 v4, 0x3ca908c9
	v_fmac_f32_e32 v4, 0xbbbac73d, v3
	v_mov_b32_e32 v5, 0xbd5c1c4e
	v_fmac_f32_e32 v5, v3, v4
	;; [unrolled: 2-line block ×4, first 2 shown]
	v_mul_f32_e64 v4, |v2|, v5
	v_fma_f32 v3, v3, v4, |v2|
.LBB1_4:
	s_or_b64 exec, exec, s[0:1]
	s_brev_b32 s0, -2
	v_bfi_b32 v3, s0, v3, v2
	v_div_scale_f32 v4, s[0:1], v2, v2, 1.0
	v_div_scale_f32 v5, s[0:1], v3, v3, 1.0
	v_div_scale_f32 v6, s[0:1], 1.0, v2, 1.0
	v_div_scale_f32 v7, vcc, 1.0, v3, 1.0
	v_rcp_f32_e32 v8, v4
	v_rcp_f32_e32 v9, v5
	v_fma_f32 v10, -v4, v8, 1.0
	v_fmac_f32_e32 v8, v10, v8
	v_fma_f32 v10, -v5, v9, 1.0
	v_mul_f32_e32 v11, v6, v8
	v_fmac_f32_e32 v9, v10, v9
	v_fma_f32 v10, -v4, v11, v6
	v_mul_f32_e32 v12, v7, v9
	v_fmac_f32_e32 v11, v10, v8
	v_fma_f32 v10, -v5, v12, v7
	v_fmac_f32_e32 v12, v10, v9
	v_fma_f32 v5, -v5, v12, v7
	v_fma_f32 v4, -v4, v11, v6
	v_div_fmas_f32 v5, v5, v9, v12
	s_mov_b64 vcc, s[0:1]
	v_div_fmas_f32 v4, v4, v8, v11
	v_mov_b32_e32 v6, s3
	v_add_co_u32_e32 v0, vcc, s2, v0
	v_addc_co_u32_e32 v1, vcc, v6, v1, vcc
	v_div_fixup_f32 v3, v5, v3, 1.0
	v_div_fixup_f32 v2, v4, v2, 1.0
	v_sub_f32_e32 v2, v3, v2
	global_store_dword v[0:1], v2, off
	s_endpgm
	.section	.rodata,"a",@progbits
	.p2align	6, 0x0
	.amdhsa_kernel _Z2k1PKfPf
		.amdhsa_group_segment_fixed_size 0
		.amdhsa_private_segment_fixed_size 0
		.amdhsa_kernarg_size 272
		.amdhsa_user_sgpr_count 6
		.amdhsa_user_sgpr_private_segment_buffer 1
		.amdhsa_user_sgpr_dispatch_ptr 0
		.amdhsa_user_sgpr_queue_ptr 0
		.amdhsa_user_sgpr_kernarg_segment_ptr 1
		.amdhsa_user_sgpr_dispatch_id 0
		.amdhsa_user_sgpr_flat_scratch_init 0
		.amdhsa_user_sgpr_private_segment_size 0
		.amdhsa_uses_dynamic_stack 0
		.amdhsa_system_sgpr_private_segment_wavefront_offset 0
		.amdhsa_system_sgpr_workgroup_id_x 1
		.amdhsa_system_sgpr_workgroup_id_y 0
		.amdhsa_system_sgpr_workgroup_id_z 0
		.amdhsa_system_sgpr_workgroup_info 0
		.amdhsa_system_vgpr_workitem_id 0
		.amdhsa_next_free_vgpr 13
		.amdhsa_next_free_sgpr 8
		.amdhsa_reserve_vcc 1
		.amdhsa_reserve_flat_scratch 0
		.amdhsa_float_round_mode_32 0
		.amdhsa_float_round_mode_16_64 0
		.amdhsa_float_denorm_mode_32 3
		.amdhsa_float_denorm_mode_16_64 3
		.amdhsa_dx10_clamp 1
		.amdhsa_ieee_mode 1
		.amdhsa_fp16_overflow 0
		.amdhsa_exception_fp_ieee_invalid_op 0
		.amdhsa_exception_fp_denorm_src 0
		.amdhsa_exception_fp_ieee_div_zero 0
		.amdhsa_exception_fp_ieee_overflow 0
		.amdhsa_exception_fp_ieee_underflow 0
		.amdhsa_exception_fp_ieee_inexact 0
		.amdhsa_exception_int_div_zero 0
	.end_amdhsa_kernel
	.text
.Lfunc_end1:
	.size	_Z2k1PKfPf, .Lfunc_end1-_Z2k1PKfPf
                                        ; -- End function
	.set _Z2k1PKfPf.num_vgpr, 13
	.set _Z2k1PKfPf.num_agpr, 0
	.set _Z2k1PKfPf.numbered_sgpr, 8
	.set _Z2k1PKfPf.num_named_barrier, 0
	.set _Z2k1PKfPf.private_seg_size, 0
	.set _Z2k1PKfPf.uses_vcc, 1
	.set _Z2k1PKfPf.uses_flat_scratch, 0
	.set _Z2k1PKfPf.has_dyn_sized_stack, 0
	.set _Z2k1PKfPf.has_recursion, 0
	.set _Z2k1PKfPf.has_indirect_call, 0
	.section	.AMDGPU.csdata,"",@progbits
; Kernel info:
; codeLenInByte = 496
; TotalNumSgprs: 12
; NumVgprs: 13
; ScratchSize: 0
; MemoryBound: 0
; FloatMode: 240
; IeeeMode: 1
; LDSByteSize: 0 bytes/workgroup (compile time only)
; SGPRBlocks: 1
; VGPRBlocks: 3
; NumSGPRsForWavesPerEU: 12
; NumVGPRsForWavesPerEU: 13
; Occupancy: 10
; WaveLimiterHint : 0
; COMPUTE_PGM_RSRC2:SCRATCH_EN: 0
; COMPUTE_PGM_RSRC2:USER_SGPR: 6
; COMPUTE_PGM_RSRC2:TRAP_HANDLER: 0
; COMPUTE_PGM_RSRC2:TGID_X_EN: 1
; COMPUTE_PGM_RSRC2:TGID_Y_EN: 0
; COMPUTE_PGM_RSRC2:TGID_Z_EN: 0
; COMPUTE_PGM_RSRC2:TIDIG_COMP_CNT: 0
	.text
	.protected	_Z2k2PKfPf              ; -- Begin function _Z2k2PKfPf
	.globl	_Z2k2PKfPf
	.p2align	8
	.type	_Z2k2PKfPf,@function
_Z2k2PKfPf:                             ; @_Z2k2PKfPf
; %bb.0:
	s_load_dword s7, s[4:5], 0x1c
	s_load_dwordx4 s[0:3], s[4:5], 0x0
	v_mov_b32_e32 v4, 0x37aaac15
	v_mov_b32_e32 v5, 0xb95cbf7f
	;; [unrolled: 1-line block ×3, first 2 shown]
	s_waitcnt lgkmcnt(0)
	s_and_b32 s4, s7, 0xffff
	s_mul_i32 s6, s6, s4
	v_add_u32_e32 v0, s6, v0
	v_ashrrev_i32_e32 v1, 31, v0
	v_lshlrev_b64 v[0:1], 2, v[0:1]
	v_mov_b32_e32 v3, s1
	v_add_co_u32_e32 v2, vcc, s0, v0
	v_addc_co_u32_e32 v3, vcc, v3, v1, vcc
	global_load_dword v2, v[2:3], off
	v_mov_b32_e32 v3, 0xb5dd9897
	v_mov_b32_e32 v7, 0xbcb60b1f
	;; [unrolled: 1-line block ×4, first 2 shown]
	v_add_co_u32_e32 v0, vcc, s2, v0
	v_addc_co_u32_e32 v1, vcc, v9, v1, vcc
	s_waitcnt vmcnt(0)
	v_mul_f32_e32 v10, v2, v2
	v_fmac_f32_e32 v3, 0x33a59000, v10
	v_fmac_f32_e32 v4, v3, v10
	;; [unrolled: 1-line block ×5, first 2 shown]
	v_mul_f32_e32 v11, 0x3e800000, v2
	v_fmac_f32_e32 v8, v7, v10
	v_fmac_f32_e32 v11, v8, v2
	global_store_dword v[0:1], v11, off
	s_endpgm
	.section	.rodata,"a",@progbits
	.p2align	6, 0x0
	.amdhsa_kernel _Z2k2PKfPf
		.amdhsa_group_segment_fixed_size 0
		.amdhsa_private_segment_fixed_size 0
		.amdhsa_kernarg_size 272
		.amdhsa_user_sgpr_count 6
		.amdhsa_user_sgpr_private_segment_buffer 1
		.amdhsa_user_sgpr_dispatch_ptr 0
		.amdhsa_user_sgpr_queue_ptr 0
		.amdhsa_user_sgpr_kernarg_segment_ptr 1
		.amdhsa_user_sgpr_dispatch_id 0
		.amdhsa_user_sgpr_flat_scratch_init 0
		.amdhsa_user_sgpr_private_segment_size 0
		.amdhsa_uses_dynamic_stack 0
		.amdhsa_system_sgpr_private_segment_wavefront_offset 0
		.amdhsa_system_sgpr_workgroup_id_x 1
		.amdhsa_system_sgpr_workgroup_id_y 0
		.amdhsa_system_sgpr_workgroup_id_z 0
		.amdhsa_system_sgpr_workgroup_info 0
		.amdhsa_system_vgpr_workitem_id 0
		.amdhsa_next_free_vgpr 12
		.amdhsa_next_free_sgpr 8
		.amdhsa_reserve_vcc 1
		.amdhsa_reserve_flat_scratch 0
		.amdhsa_float_round_mode_32 0
		.amdhsa_float_round_mode_16_64 0
		.amdhsa_float_denorm_mode_32 3
		.amdhsa_float_denorm_mode_16_64 3
		.amdhsa_dx10_clamp 1
		.amdhsa_ieee_mode 1
		.amdhsa_fp16_overflow 0
		.amdhsa_exception_fp_ieee_invalid_op 0
		.amdhsa_exception_fp_denorm_src 0
		.amdhsa_exception_fp_ieee_div_zero 0
		.amdhsa_exception_fp_ieee_overflow 0
		.amdhsa_exception_fp_ieee_underflow 0
		.amdhsa_exception_fp_ieee_inexact 0
		.amdhsa_exception_int_div_zero 0
	.end_amdhsa_kernel
	.text
.Lfunc_end2:
	.size	_Z2k2PKfPf, .Lfunc_end2-_Z2k2PKfPf
                                        ; -- End function
	.set _Z2k2PKfPf.num_vgpr, 12
	.set _Z2k2PKfPf.num_agpr, 0
	.set _Z2k2PKfPf.numbered_sgpr, 8
	.set _Z2k2PKfPf.num_named_barrier, 0
	.set _Z2k2PKfPf.private_seg_size, 0
	.set _Z2k2PKfPf.uses_vcc, 1
	.set _Z2k2PKfPf.uses_flat_scratch, 0
	.set _Z2k2PKfPf.has_dyn_sized_stack, 0
	.set _Z2k2PKfPf.has_recursion, 0
	.set _Z2k2PKfPf.has_indirect_call, 0
	.section	.AMDGPU.csdata,"",@progbits
; Kernel info:
; codeLenInByte = 188
; TotalNumSgprs: 12
; NumVgprs: 12
; ScratchSize: 0
; MemoryBound: 0
; FloatMode: 240
; IeeeMode: 1
; LDSByteSize: 0 bytes/workgroup (compile time only)
; SGPRBlocks: 1
; VGPRBlocks: 2
; NumSGPRsForWavesPerEU: 12
; NumVGPRsForWavesPerEU: 12
; Occupancy: 10
; WaveLimiterHint : 0
; COMPUTE_PGM_RSRC2:SCRATCH_EN: 0
; COMPUTE_PGM_RSRC2:USER_SGPR: 6
; COMPUTE_PGM_RSRC2:TRAP_HANDLER: 0
; COMPUTE_PGM_RSRC2:TGID_X_EN: 1
; COMPUTE_PGM_RSRC2:TGID_Y_EN: 0
; COMPUTE_PGM_RSRC2:TGID_Z_EN: 0
; COMPUTE_PGM_RSRC2:TIDIG_COMP_CNT: 0
	.section	.AMDGPU.gpr_maximums,"",@progbits
	.set amdgpu.max_num_vgpr, 0
	.set amdgpu.max_num_agpr, 0
	.set amdgpu.max_num_sgpr, 0
	.section	.AMDGPU.csdata,"",@progbits
	.type	__hip_cuid_a39cf17d3451d27b,@object ; @__hip_cuid_a39cf17d3451d27b
	.section	.bss,"aw",@nobits
	.globl	__hip_cuid_a39cf17d3451d27b
__hip_cuid_a39cf17d3451d27b:
	.byte	0                               ; 0x0
	.size	__hip_cuid_a39cf17d3451d27b, 1

	.ident	"AMD clang version 22.0.0git (https://github.com/RadeonOpenCompute/llvm-project roc-7.2.4 26084 f58b06dce1f9c15707c5f808fd002e18c2accf7e)"
	.section	".note.GNU-stack","",@progbits
	.addrsig
	.addrsig_sym __hip_cuid_a39cf17d3451d27b
	.amdgpu_metadata
---
amdhsa.kernels:
  - .args:
      - .actual_access:  read_only
        .address_space:  global
        .offset:         0
        .size:           8
        .value_kind:     global_buffer
      - .actual_access:  write_only
        .address_space:  global
        .offset:         8
        .size:           8
        .value_kind:     global_buffer
      - .offset:         16
        .size:           4
        .value_kind:     hidden_block_count_x
      - .offset:         20
        .size:           4
        .value_kind:     hidden_block_count_y
      - .offset:         24
        .size:           4
        .value_kind:     hidden_block_count_z
      - .offset:         28
        .size:           2
        .value_kind:     hidden_group_size_x
      - .offset:         30
        .size:           2
        .value_kind:     hidden_group_size_y
      - .offset:         32
        .size:           2
        .value_kind:     hidden_group_size_z
      - .offset:         34
        .size:           2
        .value_kind:     hidden_remainder_x
      - .offset:         36
        .size:           2
        .value_kind:     hidden_remainder_y
      - .offset:         38
        .size:           2
        .value_kind:     hidden_remainder_z
      - .offset:         56
        .size:           8
        .value_kind:     hidden_global_offset_x
      - .offset:         64
        .size:           8
        .value_kind:     hidden_global_offset_y
      - .offset:         72
        .size:           8
        .value_kind:     hidden_global_offset_z
      - .offset:         80
        .size:           2
        .value_kind:     hidden_grid_dims
    .group_segment_fixed_size: 0
    .kernarg_segment_align: 8
    .kernarg_segment_size: 272
    .language:       OpenCL C
    .language_version:
      - 2
      - 0
    .max_flat_workgroup_size: 1024
    .name:           _Z2k0PKfPf
    .private_segment_fixed_size: 0
    .sgpr_count:     12
    .sgpr_spill_count: 0
    .symbol:         _Z2k0PKfPf.kd
    .uniform_work_group_size: 1
    .uses_dynamic_stack: false
    .vgpr_count:     17
    .vgpr_spill_count: 0
    .wavefront_size: 64
  - .args:
      - .actual_access:  read_only
        .address_space:  global
        .offset:         0
        .size:           8
        .value_kind:     global_buffer
      - .actual_access:  write_only
        .address_space:  global
        .offset:         8
        .size:           8
        .value_kind:     global_buffer
      - .offset:         16
        .size:           4
        .value_kind:     hidden_block_count_x
      - .offset:         20
        .size:           4
        .value_kind:     hidden_block_count_y
      - .offset:         24
        .size:           4
        .value_kind:     hidden_block_count_z
      - .offset:         28
        .size:           2
        .value_kind:     hidden_group_size_x
      - .offset:         30
        .size:           2
        .value_kind:     hidden_group_size_y
      - .offset:         32
        .size:           2
        .value_kind:     hidden_group_size_z
      - .offset:         34
        .size:           2
        .value_kind:     hidden_remainder_x
      - .offset:         36
        .size:           2
        .value_kind:     hidden_remainder_y
      - .offset:         38
        .size:           2
        .value_kind:     hidden_remainder_z
      - .offset:         56
        .size:           8
        .value_kind:     hidden_global_offset_x
      - .offset:         64
        .size:           8
        .value_kind:     hidden_global_offset_y
      - .offset:         72
        .size:           8
        .value_kind:     hidden_global_offset_z
      - .offset:         80
        .size:           2
        .value_kind:     hidden_grid_dims
    .group_segment_fixed_size: 0
    .kernarg_segment_align: 8
    .kernarg_segment_size: 272
    .language:       OpenCL C
    .language_version:
      - 2
      - 0
    .max_flat_workgroup_size: 1024
    .name:           _Z2k1PKfPf
    .private_segment_fixed_size: 0
    .sgpr_count:     12
    .sgpr_spill_count: 0
    .symbol:         _Z2k1PKfPf.kd
    .uniform_work_group_size: 1
    .uses_dynamic_stack: false
    .vgpr_count:     13
    .vgpr_spill_count: 0
    .wavefront_size: 64
  - .args:
      - .actual_access:  read_only
        .address_space:  global
        .offset:         0
        .size:           8
        .value_kind:     global_buffer
      - .actual_access:  write_only
        .address_space:  global
        .offset:         8
        .size:           8
        .value_kind:     global_buffer
      - .offset:         16
        .size:           4
        .value_kind:     hidden_block_count_x
      - .offset:         20
        .size:           4
        .value_kind:     hidden_block_count_y
      - .offset:         24
        .size:           4
        .value_kind:     hidden_block_count_z
      - .offset:         28
        .size:           2
        .value_kind:     hidden_group_size_x
      - .offset:         30
        .size:           2
        .value_kind:     hidden_group_size_y
      - .offset:         32
        .size:           2
        .value_kind:     hidden_group_size_z
      - .offset:         34
        .size:           2
        .value_kind:     hidden_remainder_x
      - .offset:         36
        .size:           2
        .value_kind:     hidden_remainder_y
      - .offset:         38
        .size:           2
        .value_kind:     hidden_remainder_z
      - .offset:         56
        .size:           8
        .value_kind:     hidden_global_offset_x
      - .offset:         64
        .size:           8
        .value_kind:     hidden_global_offset_y
      - .offset:         72
        .size:           8
        .value_kind:     hidden_global_offset_z
      - .offset:         80
        .size:           2
        .value_kind:     hidden_grid_dims
    .group_segment_fixed_size: 0
    .kernarg_segment_align: 8
    .kernarg_segment_size: 272
    .language:       OpenCL C
    .language_version:
      - 2
      - 0
    .max_flat_workgroup_size: 1024
    .name:           _Z2k2PKfPf
    .private_segment_fixed_size: 0
    .sgpr_count:     12
    .sgpr_spill_count: 0
    .symbol:         _Z2k2PKfPf.kd
    .uniform_work_group_size: 1
    .uses_dynamic_stack: false
    .vgpr_count:     12
    .vgpr_spill_count: 0
    .wavefront_size: 64
amdhsa.target:   amdgcn-amd-amdhsa--gfx906
amdhsa.version:
  - 1
  - 2
...

	.end_amdgpu_metadata
